;; amdgpu-corpus repo=ROCm/rocFFT kind=compiled arch=gfx906 opt=O3
	.text
	.amdgcn_target "amdgcn-amd-amdhsa--gfx906"
	.amdhsa_code_object_version 6
	.protected	fft_rtc_fwd_len84_factors_7_2_6_wgs_120_tpt_12_halfLds_half_op_CI_CI_sbrr_dirReg ; -- Begin function fft_rtc_fwd_len84_factors_7_2_6_wgs_120_tpt_12_halfLds_half_op_CI_CI_sbrr_dirReg
	.globl	fft_rtc_fwd_len84_factors_7_2_6_wgs_120_tpt_12_halfLds_half_op_CI_CI_sbrr_dirReg
	.p2align	8
	.type	fft_rtc_fwd_len84_factors_7_2_6_wgs_120_tpt_12_halfLds_half_op_CI_CI_sbrr_dirReg,@function
fft_rtc_fwd_len84_factors_7_2_6_wgs_120_tpt_12_halfLds_half_op_CI_CI_sbrr_dirReg: ; @fft_rtc_fwd_len84_factors_7_2_6_wgs_120_tpt_12_halfLds_half_op_CI_CI_sbrr_dirReg
; %bb.0:
	s_load_dwordx4 s[16:19], s[4:5], 0x18
	s_load_dwordx4 s[8:11], s[4:5], 0x0
	;; [unrolled: 1-line block ×3, first 2 shown]
	v_mul_u32_u24_e32 v1, 0x1556, v0
	v_lshrrev_b32_e32 v1, 16, v1
	v_mad_u64_u32 v[5:6], s[0:1], s6, 10, v[1:2]
	s_waitcnt lgkmcnt(0)
	s_load_dwordx2 s[2:3], s[16:17], 0x0
	s_load_dwordx2 s[20:21], s[18:19], 0x0
	v_mov_b32_e32 v9, 0
	v_cmp_lt_u64_e64 s[0:1], s[10:11], 2
	v_mov_b32_e32 v7, 0
	v_mov_b32_e32 v6, v9
	;; [unrolled: 1-line block ×5, first 2 shown]
	s_and_b64 vcc, exec, s[0:1]
	v_mov_b32_e32 v2, v8
	v_mov_b32_e32 v4, v6
	s_cbranch_vccnz .LBB0_8
; %bb.1:
	s_load_dwordx2 s[0:1], s[4:5], 0x10
	s_add_u32 s6, s18, 8
	s_addc_u32 s7, s19, 0
	s_add_u32 s22, s16, 8
	s_addc_u32 s23, s17, 0
	v_mov_b32_e32 v7, 0
	s_waitcnt lgkmcnt(0)
	s_add_u32 s24, s0, 8
	v_mov_b32_e32 v8, 0
	v_mov_b32_e32 v1, v7
	;; [unrolled: 1-line block ×3, first 2 shown]
	s_addc_u32 s25, s1, 0
	s_mov_b64 s[26:27], 1
	v_mov_b32_e32 v2, v8
	v_mov_b32_e32 v11, v5
.LBB0_2:                                ; =>This Inner Loop Header: Depth=1
	s_load_dwordx2 s[28:29], s[24:25], 0x0
                                        ; implicit-def: $vgpr3_vgpr4
	s_waitcnt lgkmcnt(0)
	v_or_b32_e32 v10, s29, v12
	v_cmp_ne_u64_e32 vcc, 0, v[9:10]
	s_and_saveexec_b64 s[0:1], vcc
	s_xor_b64 s[30:31], exec, s[0:1]
	s_cbranch_execz .LBB0_4
; %bb.3:                                ;   in Loop: Header=BB0_2 Depth=1
	v_cvt_f32_u32_e32 v3, s28
	v_cvt_f32_u32_e32 v4, s29
	s_sub_u32 s0, 0, s28
	s_subb_u32 s1, 0, s29
	v_mac_f32_e32 v3, 0x4f800000, v4
	v_rcp_f32_e32 v3, v3
	v_mul_f32_e32 v3, 0x5f7ffffc, v3
	v_mul_f32_e32 v4, 0x2f800000, v3
	v_trunc_f32_e32 v4, v4
	v_mac_f32_e32 v3, 0xcf800000, v4
	v_cvt_u32_f32_e32 v4, v4
	v_cvt_u32_f32_e32 v3, v3
	v_mul_lo_u32 v6, s0, v4
	v_mul_hi_u32 v10, s0, v3
	v_mul_lo_u32 v14, s1, v3
	v_mul_lo_u32 v13, s0, v3
	v_add_u32_e32 v6, v10, v6
	v_add_u32_e32 v6, v6, v14
	v_mul_hi_u32 v10, v3, v13
	v_mul_lo_u32 v14, v3, v6
	v_mul_hi_u32 v16, v3, v6
	v_mul_hi_u32 v15, v4, v13
	v_mul_lo_u32 v13, v4, v13
	v_mul_hi_u32 v17, v4, v6
	v_add_co_u32_e32 v10, vcc, v10, v14
	v_addc_co_u32_e32 v14, vcc, 0, v16, vcc
	v_mul_lo_u32 v6, v4, v6
	v_add_co_u32_e32 v10, vcc, v10, v13
	v_addc_co_u32_e32 v10, vcc, v14, v15, vcc
	v_addc_co_u32_e32 v13, vcc, 0, v17, vcc
	v_add_co_u32_e32 v6, vcc, v10, v6
	v_addc_co_u32_e32 v10, vcc, 0, v13, vcc
	v_add_co_u32_e32 v3, vcc, v3, v6
	v_addc_co_u32_e32 v4, vcc, v4, v10, vcc
	v_mul_lo_u32 v6, s0, v4
	v_mul_hi_u32 v10, s0, v3
	v_mul_lo_u32 v13, s1, v3
	v_mul_lo_u32 v14, s0, v3
	v_add_u32_e32 v6, v10, v6
	v_add_u32_e32 v6, v6, v13
	v_mul_lo_u32 v15, v3, v6
	v_mul_hi_u32 v16, v3, v14
	v_mul_hi_u32 v17, v3, v6
	;; [unrolled: 1-line block ×3, first 2 shown]
	v_mul_lo_u32 v14, v4, v14
	v_mul_hi_u32 v10, v4, v6
	v_add_co_u32_e32 v15, vcc, v16, v15
	v_addc_co_u32_e32 v16, vcc, 0, v17, vcc
	v_mul_lo_u32 v6, v4, v6
	v_add_co_u32_e32 v14, vcc, v15, v14
	v_addc_co_u32_e32 v13, vcc, v16, v13, vcc
	v_addc_co_u32_e32 v10, vcc, 0, v10, vcc
	v_add_co_u32_e32 v6, vcc, v13, v6
	v_addc_co_u32_e32 v10, vcc, 0, v10, vcc
	v_add_co_u32_e32 v6, vcc, v3, v6
	v_addc_co_u32_e32 v10, vcc, v4, v10, vcc
	v_mad_u64_u32 v[3:4], s[0:1], v11, v10, 0
	v_mul_hi_u32 v13, v11, v6
	v_add_co_u32_e32 v15, vcc, v13, v3
	v_addc_co_u32_e32 v16, vcc, 0, v4, vcc
	v_mad_u64_u32 v[3:4], s[0:1], v12, v6, 0
	v_mad_u64_u32 v[13:14], s[0:1], v12, v10, 0
	v_add_co_u32_e32 v3, vcc, v15, v3
	v_addc_co_u32_e32 v3, vcc, v16, v4, vcc
	v_addc_co_u32_e32 v4, vcc, 0, v14, vcc
	v_add_co_u32_e32 v6, vcc, v3, v13
	v_addc_co_u32_e32 v10, vcc, 0, v4, vcc
	v_mul_lo_u32 v13, s29, v6
	v_mul_lo_u32 v14, s28, v10
	v_mad_u64_u32 v[3:4], s[0:1], s28, v6, 0
	v_add3_u32 v4, v4, v14, v13
	v_sub_u32_e32 v13, v12, v4
	v_mov_b32_e32 v14, s29
	v_sub_co_u32_e32 v3, vcc, v11, v3
	v_subb_co_u32_e64 v13, s[0:1], v13, v14, vcc
	v_subrev_co_u32_e64 v14, s[0:1], s28, v3
	v_subbrev_co_u32_e64 v13, s[0:1], 0, v13, s[0:1]
	v_cmp_le_u32_e64 s[0:1], s29, v13
	v_cndmask_b32_e64 v15, 0, -1, s[0:1]
	v_cmp_le_u32_e64 s[0:1], s28, v14
	v_cndmask_b32_e64 v14, 0, -1, s[0:1]
	v_cmp_eq_u32_e64 s[0:1], s29, v13
	v_cndmask_b32_e64 v13, v15, v14, s[0:1]
	v_add_co_u32_e64 v14, s[0:1], 2, v6
	v_addc_co_u32_e64 v15, s[0:1], 0, v10, s[0:1]
	v_add_co_u32_e64 v16, s[0:1], 1, v6
	v_addc_co_u32_e64 v17, s[0:1], 0, v10, s[0:1]
	v_subb_co_u32_e32 v4, vcc, v12, v4, vcc
	v_cmp_ne_u32_e64 s[0:1], 0, v13
	v_cmp_le_u32_e32 vcc, s29, v4
	v_cndmask_b32_e64 v13, v17, v15, s[0:1]
	v_cndmask_b32_e64 v15, 0, -1, vcc
	v_cmp_le_u32_e32 vcc, s28, v3
	v_cndmask_b32_e64 v3, 0, -1, vcc
	v_cmp_eq_u32_e32 vcc, s29, v4
	v_cndmask_b32_e32 v3, v15, v3, vcc
	v_cmp_ne_u32_e32 vcc, 0, v3
	v_cndmask_b32_e64 v3, v16, v14, s[0:1]
	v_cndmask_b32_e32 v4, v10, v13, vcc
	v_cndmask_b32_e32 v3, v6, v3, vcc
.LBB0_4:                                ;   in Loop: Header=BB0_2 Depth=1
	s_andn2_saveexec_b64 s[0:1], s[30:31]
	s_cbranch_execz .LBB0_6
; %bb.5:                                ;   in Loop: Header=BB0_2 Depth=1
	v_cvt_f32_u32_e32 v3, s28
	s_sub_i32 s30, 0, s28
	v_rcp_iflag_f32_e32 v3, v3
	v_mul_f32_e32 v3, 0x4f7ffffe, v3
	v_cvt_u32_f32_e32 v3, v3
	v_mul_lo_u32 v4, s30, v3
	v_mul_hi_u32 v4, v3, v4
	v_add_u32_e32 v3, v3, v4
	v_mul_hi_u32 v3, v11, v3
	v_mul_lo_u32 v4, v3, s28
	v_add_u32_e32 v6, 1, v3
	v_sub_u32_e32 v4, v11, v4
	v_subrev_u32_e32 v10, s28, v4
	v_cmp_le_u32_e32 vcc, s28, v4
	v_cndmask_b32_e32 v4, v4, v10, vcc
	v_cndmask_b32_e32 v3, v3, v6, vcc
	v_add_u32_e32 v6, 1, v3
	v_cmp_le_u32_e32 vcc, s28, v4
	v_cndmask_b32_e32 v3, v3, v6, vcc
	v_mov_b32_e32 v4, v9
.LBB0_6:                                ;   in Loop: Header=BB0_2 Depth=1
	s_or_b64 exec, exec, s[0:1]
	v_mul_lo_u32 v6, v4, s28
	v_mul_lo_u32 v10, v3, s29
	v_mad_u64_u32 v[13:14], s[0:1], v3, s28, 0
	s_load_dwordx2 s[0:1], s[22:23], 0x0
	s_load_dwordx2 s[28:29], s[6:7], 0x0
	v_add3_u32 v6, v14, v10, v6
	v_sub_co_u32_e32 v10, vcc, v11, v13
	v_subb_co_u32_e32 v6, vcc, v12, v6, vcc
	s_waitcnt lgkmcnt(0)
	v_mul_lo_u32 v11, s0, v6
	v_mul_lo_u32 v12, s1, v10
	v_mad_u64_u32 v[7:8], s[0:1], s0, v10, v[7:8]
	s_add_u32 s26, s26, 1
	s_addc_u32 s27, s27, 0
	s_add_u32 s6, s6, 8
	v_mul_lo_u32 v6, s28, v6
	v_mul_lo_u32 v13, s29, v10
	v_mad_u64_u32 v[1:2], s[0:1], s28, v10, v[1:2]
	v_add3_u32 v8, v12, v8, v11
	s_addc_u32 s7, s7, 0
	v_mov_b32_e32 v10, s10
	s_add_u32 s22, s22, 8
	v_mov_b32_e32 v11, s11
	s_addc_u32 s23, s23, 0
	v_cmp_ge_u64_e32 vcc, s[26:27], v[10:11]
	s_add_u32 s24, s24, 8
	v_add3_u32 v2, v13, v2, v6
	s_addc_u32 s25, s25, 0
	s_cbranch_vccnz .LBB0_8
; %bb.7:                                ;   in Loop: Header=BB0_2 Depth=1
	v_mov_b32_e32 v12, v4
	v_mov_b32_e32 v11, v3
	s_branch .LBB0_2
.LBB0_8:
	s_load_dwordx2 s[0:1], s[4:5], 0x28
	s_lshl_b64 s[10:11], s[10:11], 3
	s_add_u32 s4, s18, s10
	s_addc_u32 s5, s19, s11
                                        ; implicit-def: $sgpr18
                                        ; implicit-def: $vgpr6
                                        ; implicit-def: $vgpr9
                                        ; implicit-def: $vgpr10
                                        ; implicit-def: $vgpr11
	s_waitcnt lgkmcnt(0)
	v_cmp_gt_u64_e32 vcc, s[0:1], v[3:4]
	v_cmp_le_u64_e64 s[0:1], s[0:1], v[3:4]
	s_and_saveexec_b64 s[6:7], s[0:1]
	s_xor_b64 s[0:1], exec, s[6:7]
; %bb.9:
	s_mov_b32 s6, 0x15555556
	v_mul_hi_u32 v6, v0, s6
	s_mov_b32 s18, 0
                                        ; implicit-def: $vgpr7_vgpr8
	v_mul_u32_u24_e32 v6, 12, v6
	v_sub_u32_e32 v6, v0, v6
	v_add_u32_e32 v9, 12, v6
	v_add_u32_e32 v10, 24, v6
	v_add_u32_e32 v11, 36, v6
                                        ; implicit-def: $vgpr0
; %bb.10:
	s_or_saveexec_b64 s[6:7], s[0:1]
	v_mov_b32_e32 v21, s18
	v_mov_b32_e32 v20, s18
	v_mov_b32_e32 v12, s18
	v_mov_b32_e32 v22, s18
                                        ; implicit-def: $vgpr24
                                        ; implicit-def: $vgpr23
                                        ; implicit-def: $vgpr25
                                        ; implicit-def: $vgpr26
	s_xor_b64 exec, exec, s[6:7]
	s_cbranch_execz .LBB0_12
; %bb.11:
	s_add_u32 s0, s16, s10
	s_mov_b32 s10, 0x15555556
	v_mul_hi_u32 v6, v0, s10
	s_addc_u32 s1, s17, s11
	s_load_dwordx2 s[0:1], s[0:1], 0x0
	v_lshlrev_b64 v[7:8], 2, v[7:8]
	v_mul_u32_u24_e32 v6, 12, v6
	v_sub_u32_e32 v6, v0, v6
	v_mad_u64_u32 v[10:11], s[10:11], s2, v6, 0
	s_waitcnt lgkmcnt(0)
	v_mul_lo_u32 v9, s1, v3
	v_mul_lo_u32 v16, s0, v4
	v_mad_u64_u32 v[12:13], s[0:1], s0, v3, 0
	v_mov_b32_e32 v0, v11
	v_mad_u64_u32 v[14:15], s[0:1], s3, v6, v[0:1]
	v_add3_u32 v13, v13, v16, v9
	v_lshlrev_b64 v[12:13], 2, v[12:13]
	v_mov_b32_e32 v11, v14
	v_mov_b32_e32 v0, s13
	v_add_co_u32_e64 v14, s[0:1], s12, v12
	v_add_u32_e32 v9, 12, v6
	v_addc_co_u32_e64 v0, s[0:1], v0, v13, s[0:1]
	v_mad_u64_u32 v[12:13], s[0:1], s2, v9, 0
	v_add_co_u32_e64 v25, s[0:1], v14, v7
	v_addc_co_u32_e64 v26, s[0:1], v0, v8, s[0:1]
	v_mov_b32_e32 v0, v13
	v_lshlrev_b64 v[7:8], 2, v[10:11]
	v_mad_u64_u32 v[13:14], s[0:1], s3, v9, v[0:1]
	v_add_u32_e32 v10, 24, v6
	v_mad_u64_u32 v[14:15], s[0:1], s2, v10, 0
	v_add_co_u32_e64 v7, s[0:1], v25, v7
	v_mov_b32_e32 v0, v15
	v_addc_co_u32_e64 v8, s[0:1], v26, v8, s[0:1]
	v_mad_u64_u32 v[15:16], s[0:1], s3, v10, v[0:1]
	v_add_u32_e32 v11, 36, v6
	v_mad_u64_u32 v[16:17], s[0:1], s2, v11, 0
	v_lshlrev_b64 v[12:13], 2, v[12:13]
	v_lshlrev_b64 v[14:15], 2, v[14:15]
	v_add_co_u32_e64 v12, s[0:1], v25, v12
	v_mov_b32_e32 v0, v17
	v_addc_co_u32_e64 v13, s[0:1], v26, v13, s[0:1]
	v_mad_u64_u32 v[17:18], s[0:1], s3, v11, v[0:1]
	v_add_co_u32_e64 v14, s[0:1], v25, v14
	v_lshlrev_b64 v[16:17], 2, v[16:17]
	v_or_b32_e32 v20, 48, v6
	v_addc_co_u32_e64 v15, s[0:1], v26, v15, s[0:1]
	v_mad_u64_u32 v[18:19], s[0:1], s2, v20, 0
	v_add_co_u32_e64 v16, s[0:1], v25, v16
	v_add_u32_e32 v27, 60, v6
	v_addc_co_u32_e64 v17, s[0:1], v26, v17, s[0:1]
	v_mad_u64_u32 v[23:24], s[0:1], s2, v27, 0
	v_mov_b32_e32 v0, v19
	v_mad_u64_u32 v[19:20], s[0:1], s3, v20, v[0:1]
	v_mov_b32_e32 v0, v24
	global_load_dword v20, v[7:8], off
	global_load_dword v21, v[12:13], off
	;; [unrolled: 1-line block ×4, first 2 shown]
	v_mad_u64_u32 v[12:13], s[0:1], s3, v27, v[0:1]
	v_add_u32_e32 v17, 0x48, v6
	v_mad_u64_u32 v[13:14], s[0:1], s2, v17, 0
	v_lshlrev_b64 v[7:8], 2, v[18:19]
	v_mov_b32_e32 v24, v12
	v_add_co_u32_e64 v7, s[0:1], v25, v7
	v_mov_b32_e32 v0, v14
	v_addc_co_u32_e64 v8, s[0:1], v26, v8, s[0:1]
	v_lshlrev_b64 v[15:16], 2, v[23:24]
	v_mad_u64_u32 v[17:18], s[0:1], s3, v17, v[0:1]
	v_add_co_u32_e64 v14, s[0:1], v25, v15
	v_addc_co_u32_e64 v15, s[0:1], v26, v16, s[0:1]
	global_load_dword v0, v[14:15], off
	v_mov_b32_e32 v14, v17
	v_lshlrev_b64 v[12:13], 2, v[13:14]
	v_add_co_u32_e64 v14, s[0:1], v25, v12
	v_addc_co_u32_e64 v15, s[0:1], v26, v13, s[0:1]
	global_load_dword v23, v[14:15], off
	global_load_dword v12, v[7:8], off
	s_mov_b32 s0, 0x5040100
	s_waitcnt vmcnt(2)
	v_perm_b32 v25, v0, v28, s0
	s_mov_b32 s0, 0x7060302
	v_lshrrev_b32_e32 v24, 16, v0
	s_waitcnt vmcnt(1)
	v_perm_b32 v26, v23, v28, s0
.LBB0_12:
	s_or_b64 exec, exec, s[6:7]
	s_mov_b32 s0, 0xcccccccd
	v_mul_hi_u32 v0, v5, s0
	s_mov_b32 s1, 0x5040100
	s_waitcnt vmcnt(0)
	v_perm_b32 v29, v22, v12, s1
	v_add_f16_e32 v7, v23, v21
	v_lshrrev_b32_e32 v0, 3, v0
	v_mul_lo_u32 v0, v0, 10
	s_mov_b32 s0, 0x7060302
	v_perm_b32 v28, v21, v12, s0
	v_sub_f16_sdwa v8, v22, v24 dst_sel:DWORD dst_unused:UNUSED_PAD src0_sel:WORD_1 src1_sel:DWORD
	v_sub_u32_e32 v0, v5, v0
	v_mul_u32_u24_e32 v15, 0x54, v0
	v_pk_add_f16 v0, v25, v29
	v_add_f16_sdwa v13, v7, v0 dst_sel:DWORD dst_unused:UNUSED_PAD src0_sel:DWORD src1_sel:WORD_1
	v_sub_f16_e32 v14, v7, v0
	v_alignbit_b32 v7, v7, v0, 16
	v_pk_add_f16 v12, v28, v26 neg_lo:[0,1] neg_hi:[0,1]
	v_pk_add_f16 v7, v0, v7 neg_lo:[0,1] neg_hi:[0,1]
	s_mov_b32 s0, 0x39e02b26
	v_pack_b32_f16 v17, v8, v12
	v_add_f16_e32 v0, v13, v0
	v_pk_mul_f16 v13, v7, s0
	s_movk_i32 s10, 0x3a52
	v_add_f16_e32 v16, v8, v12
	v_pk_add_f16 v17, v12, v17 neg_lo:[0,1] neg_hi:[0,1]
	v_sub_f16_sdwa v8, v8, v12 dst_sel:DWORD dst_unused:UNUSED_PAD src0_sel:DWORD src1_sel:WORD_1
	s_mov_b32 s1, 0x3574b846
	v_fma_f16 v30, v14, s10, v13
	v_mul_f16_e32 v14, 0xba52, v14
	v_add_f16_sdwa v12, v12, v16 dst_sel:DWORD dst_unused:UNUSED_PAD src0_sel:WORD_1 src1_sel:DWORD
	v_add_f16_e32 v16, v0, v20
	v_pk_mul_f16 v19, v17, s1
	v_mul_f16_e32 v8, 0x3b00, v8
	s_mov_b32 s7, 0xbcab
	v_alignbit_b32 v13, v14, v13, 16
	s_movk_i32 s6, 0x370e
	v_mul_f16_e32 v18, 0x370e, v12
	v_fma_f16 v0, v0, s7, v16
	v_pk_fma_f16 v7, v7, s0, v13 neg_lo:[1,0,0] neg_hi:[1,0,0]
	v_add_f16_sdwa v13, v19, v19 dst_sel:DWORD dst_unused:UNUSED_PAD src0_sel:WORD_1 src1_sel:DWORD
	v_pk_fma_f16 v8, v17, s1, v8 op_sel_hi:[1,1,0] neg_lo:[1,0,0] neg_hi:[1,0,1]
	v_add_f16_e32 v14, v30, v0
	v_pk_add_f16 v0, v7, v0 op_sel_hi:[1,0]
	v_fma_f16 v7, v12, s6, v13
	v_pk_add_f16 v8, v8, v18 op_sel_hi:[1,0]
	v_lshl_add_u32 v5, v15, 1, 0
	v_add_f16_e32 v12, v14, v7
	v_pk_add_f16 v13, v0, v8
	v_pk_add_f16 v8, v0, v8 neg_lo:[0,1] neg_hi:[0,1]
	s_mov_b32 s0, 0xffff
	v_mad_u32_u24 v27, v6, 14, v5
	v_sub_f16_e32 v0, v14, v7
	v_bfi_b32 v14, s0, v13, v8
	v_alignbit_b32 v13, v8, v13, 16
	v_pack_b32_f16 v12, v16, v12
	s_load_dwordx2 s[4:5], s[4:5], 0x0
	ds_write_b96 v27, v[12:14]
	ds_write_b16 v27, v0 offset:12
	v_lshl_add_u32 v14, v6, 1, v5
	s_waitcnt lgkmcnt(0)
	s_barrier
	v_mad_i32_i24 v18, v6, -12, v27
	v_lshl_add_u32 v19, v9, 1, v5
	v_lshl_add_u32 v33, v10, 1, v5
	ds_read_u16 v5, v14
	ds_read_u16 v16, v18 offset:84
	ds_read_u16 v13, v18 offset:108
	;; [unrolled: 1-line block ×3, first 2 shown]
	ds_read_u16 v7, v19
	ds_read_u16 v8, v33
	s_movk_i32 s11, 0x3b00
	v_cmp_gt_u32_e64 s[2:3], 6, v6
	v_lshlrev_b32_e32 v34, 1, v11
	v_lshlrev_b32_e32 v15, 1, v15
                                        ; implicit-def: $vgpr17
	s_and_saveexec_b64 s[0:1], s[2:3]
	s_cbranch_execz .LBB0_14
; %bb.13:
	v_add3_u32 v0, 0, v34, v15
	ds_read_u16 v0, v0
	ds_read_u16 v17, v18 offset:156
.LBB0_14:
	s_or_b64 exec, exec, s[0:1]
	v_sub_f16_e32 v21, v21, v23
	v_add_f16_sdwa v22, v24, v22 dst_sel:DWORD dst_unused:UNUSED_PAD src0_sel:DWORD src1_sel:WORD_1
	v_pk_add_f16 v23, v26, v28
	v_pk_add_f16 v24, v29, v25 neg_lo:[0,1] neg_hi:[0,1]
	v_add_f16_sdwa v25, v23, v22 dst_sel:DWORD dst_unused:UNUSED_PAD src0_sel:WORD_1 src1_sel:DWORD
	v_sub_f16_sdwa v26, v22, v23 dst_sel:DWORD dst_unused:UNUSED_PAD src0_sel:DWORD src1_sel:WORD_1
	v_sub_f16_e32 v22, v23, v22
	v_sub_f16_sdwa v28, v23, v23 dst_sel:DWORD dst_unused:UNUSED_PAD src0_sel:WORD_1 src1_sel:DWORD
	v_mul_f16_e32 v22, 0x2b26, v22
	s_movk_i32 s0, 0x39e0
	v_add_f16_sdwa v29, v24, v24 dst_sel:DWORD dst_unused:UNUSED_PAD src0_sel:WORD_1 src1_sel:DWORD
	v_sub_f16_sdwa v30, v24, v24 dst_sel:DWORD dst_unused:UNUSED_PAD src0_sel:DWORD src1_sel:WORD_1
	v_add_f16_e32 v23, v25, v23
	v_mul_f16_e32 v25, 0x3a52, v28
	v_fma_f16 v28, v28, s10, v22
	v_fma_f16 v22, v26, s0, -v22
	s_mov_b32 s0, 0xb9e0
	v_sub_f16_e32 v31, v21, v24
	v_sub_f16_sdwa v24, v24, v21 dst_sel:DWORD dst_unused:UNUSED_PAD src0_sel:WORD_1 src1_sel:DWORD
	v_add_f16_e32 v21, v21, v29
	v_mul_f16_e32 v29, 0xb846, v30
	v_fma_f16 v25, v26, s0, -v25
	s_movk_i32 s0, 0x3574
	v_add_f16_sdwa v20, v23, v20 dst_sel:DWORD dst_unused:UNUSED_PAD src0_sel:DWORD src1_sel:WORD_1
	v_mul_f16_e32 v30, 0x3b00, v24
	v_fma_f16 v26, v31, s0, v29
	s_mov_b32 s0, 0xb574
	v_fma_f16 v23, v23, s7, v20
	v_fma_f16 v24, v24, s11, -v29
	v_fma_f16 v29, v31, s0, -v30
	v_add_f16_e32 v28, v28, v23
	v_add_f16_e32 v22, v22, v23
	;; [unrolled: 1-line block ×3, first 2 shown]
	v_fma_f16 v25, v21, s6, v26
	v_fma_f16 v24, v21, s6, v24
	;; [unrolled: 1-line block ×3, first 2 shown]
	v_sub_f16_e32 v29, v28, v25
	v_sub_f16_e32 v30, v23, v21
	v_add_f16_e32 v31, v24, v22
	v_sub_f16_e32 v22, v22, v24
	v_add_f16_e32 v21, v21, v23
	v_pack_b32_f16 v22, v22, v21
	v_pack_b32_f16 v21, v30, v31
	;; [unrolled: 1-line block ×3, first 2 shown]
	v_add_f16_e32 v26, v25, v28
	s_waitcnt lgkmcnt(0)
	s_barrier
	ds_write_b96 v27, v[20:22]
	ds_write_b16 v27, v26 offset:12
	s_waitcnt lgkmcnt(0)
	s_barrier
	ds_read_u16 v27, v14
	ds_read_u16 v32, v18 offset:84
	ds_read_u16 v31, v18 offset:108
	;; [unrolled: 1-line block ×3, first 2 shown]
	ds_read_u16 v29, v19
	ds_read_u16 v28, v33
                                        ; implicit-def: $vgpr33
	s_and_saveexec_b64 s[0:1], s[2:3]
	s_cbranch_execz .LBB0_16
; %bb.15:
	v_add3_u32 v20, 0, v34, v15
	ds_read_u16 v26, v20
	ds_read_u16 v33, v18 offset:156
.LBB0_16:
	s_or_b64 exec, exec, s[0:1]
	v_add_u32_e32 v20, -7, v6
	v_cmp_gt_u32_e64 s[0:1], 7, v6
	v_cndmask_b32_e64 v20, v20, v6, s[0:1]
	v_mov_b32_e32 v21, 0
	v_lshlrev_b64 v[21:22], 2, v[20:21]
	v_mov_b32_e32 v23, s9
	v_add_co_u32_e64 v21, s[0:1], s8, v21
	v_addc_co_u32_e64 v22, s[0:1], v23, v22, s[0:1]
	v_mov_b32_e32 v23, 37
	v_mul_lo_u16_sdwa v34, v10, v23 dst_sel:DWORD dst_unused:UNUSED_PAD src0_sel:BYTE_0 src1_sel:DWORD
	v_sub_u16_sdwa v35, v10, v34 dst_sel:DWORD dst_unused:UNUSED_PAD src0_sel:DWORD src1_sel:BYTE_1
	v_lshrrev_b16_e32 v35, 1, v35
	v_and_b32_e32 v35, 0x7f, v35
	v_add_u16_sdwa v34, v35, v34 dst_sel:DWORD dst_unused:UNUSED_PAD src0_sel:DWORD src1_sel:BYTE_1
	v_mul_lo_u16_sdwa v24, v9, v23 dst_sel:DWORD dst_unused:UNUSED_PAD src0_sel:BYTE_0 src1_sel:DWORD
	v_lshrrev_b16_e32 v40, 2, v34
	v_sub_u16_sdwa v25, v9, v24 dst_sel:DWORD dst_unused:UNUSED_PAD src0_sel:DWORD src1_sel:BYTE_1
	v_mul_lo_u16_e32 v34, 7, v40
	v_mul_lo_u16_sdwa v23, v11, v23 dst_sel:DWORD dst_unused:UNUSED_PAD src0_sel:BYTE_0 src1_sel:DWORD
	v_lshrrev_b16_e32 v25, 1, v25
	v_sub_u16_e32 v41, v10, v34
	v_sub_u16_sdwa v34, v11, v23 dst_sel:DWORD dst_unused:UNUSED_PAD src0_sel:DWORD src1_sel:BYTE_1
	v_and_b32_e32 v25, 0x7f, v25
	v_lshrrev_b16_e32 v34, 1, v34
	v_add_u16_sdwa v24, v25, v24 dst_sel:DWORD dst_unused:UNUSED_PAD src0_sel:DWORD src1_sel:BYTE_1
	v_and_b32_e32 v34, 0x7f, v34
	v_lshrrev_b16_e32 v24, 2, v24
	global_load_dword v35, v[21:22], off
	v_add_u16_sdwa v21, v34, v23 dst_sel:DWORD dst_unused:UNUSED_PAD src0_sel:DWORD src1_sel:BYTE_1
	v_mul_lo_u16_e32 v25, 7, v24
	v_lshrrev_b16_e32 v21, 2, v21
	v_sub_u16_e32 v25, v9, v25
	v_mov_b32_e32 v36, 2
	v_mul_lo_u16_e32 v21, 7, v21
	v_lshlrev_b32_sdwa v39, v36, v25 dst_sel:DWORD dst_unused:UNUSED_PAD src0_sel:DWORD src1_sel:BYTE_0
	v_sub_u16_e32 v34, v11, v21
	v_lshlrev_b32_sdwa v10, v36, v41 dst_sel:DWORD dst_unused:UNUSED_PAD src0_sel:DWORD src1_sel:BYTE_0
	v_lshlrev_b32_sdwa v11, v36, v34 dst_sel:DWORD dst_unused:UNUSED_PAD src0_sel:DWORD src1_sel:BYTE_0
	global_load_dword v38, v39, s[8:9]
	global_load_dword v37, v10, s[8:9]
	global_load_dword v36, v11, s[8:9]
	v_cmp_lt_u32_e64 s[0:1], 6, v6
	v_cndmask_b32_e64 v11, 0, 28, s[0:1]
	v_mov_b32_e32 v10, 1
	v_add_u32_e32 v11, 0, v11
	v_lshlrev_b32_e32 v20, 1, v20
	v_add3_u32 v39, v11, v20, v15
	v_mad_u32_u24 v11, v24, 28, 0
	v_lshlrev_b32_sdwa v21, v10, v25 dst_sel:DWORD dst_unused:UNUSED_PAD src0_sel:DWORD src1_sel:BYTE_0
	v_lshlrev_b32_sdwa v22, v10, v41 dst_sel:DWORD dst_unused:UNUSED_PAD src0_sel:DWORD src1_sel:BYTE_0
	v_add3_u32 v41, v11, v21, v15
	v_mad_u32_u24 v20, v40, 28, 0
	s_waitcnt vmcnt(0) lgkmcnt(0)
	s_barrier
	v_add3_u32 v40, v20, v22, v15
	v_mul_f16_sdwa v11, v32, v35 dst_sel:DWORD dst_unused:UNUSED_PAD src0_sel:DWORD src1_sel:WORD_1
	v_fma_f16 v11, v16, v35, -v11
	v_sub_f16_e32 v11, v5, v11
	v_fma_f16 v5, v5, 2.0, -v11
	ds_write_b16 v39, v11 offset:14
	ds_write_b16 v39, v5
	v_mul_f16_sdwa v5, v31, v38 dst_sel:DWORD dst_unused:UNUSED_PAD src0_sel:DWORD src1_sel:WORD_1
	v_mul_f16_sdwa v11, v30, v37 dst_sel:DWORD dst_unused:UNUSED_PAD src0_sel:DWORD src1_sel:WORD_1
	;; [unrolled: 1-line block ×3, first 2 shown]
	v_fma_f16 v5, v13, v38, -v5
	v_fma_f16 v20, v17, v36, -v20
	;; [unrolled: 1-line block ×3, first 2 shown]
	v_sub_f16_e32 v21, v7, v5
	v_sub_f16_e32 v5, v0, v20
	;; [unrolled: 1-line block ×3, first 2 shown]
	v_fma_f16 v0, v0, 2.0, -v5
	v_fma_f16 v7, v7, 2.0, -v21
	;; [unrolled: 1-line block ×3, first 2 shown]
	ds_write_b16 v41, v21 offset:14
	ds_write_b16 v41, v7
	ds_write_b16 v40, v8
	ds_write_b16 v40, v11 offset:14
	s_and_saveexec_b64 s[0:1], s[2:3]
	s_cbranch_execz .LBB0_18
; %bb.17:
	v_lshlrev_b32_sdwa v7, v10, v34 dst_sel:DWORD dst_unused:UNUSED_PAD src0_sel:DWORD src1_sel:BYTE_0
	v_add3_u32 v7, 0, v7, v15
	ds_write_b16 v7, v0 offset:140
	ds_write_b16 v7, v5 offset:154
.LBB0_18:
	s_or_b64 exec, exec, s[0:1]
	s_waitcnt lgkmcnt(0)
	s_barrier
	ds_read_u16 v20, v14
	ds_read_u16 v21, v18 offset:28
	ds_read_u16 v24, v18 offset:56
	;; [unrolled: 1-line block ×5, first 2 shown]
	v_cmp_gt_u32_e64 s[0:1], 2, v6
                                        ; implicit-def: $vgpr7
                                        ; implicit-def: $vgpr8
                                        ; implicit-def: $vgpr10
                                        ; implicit-def: $vgpr11
	s_and_saveexec_b64 s[6:7], s[0:1]
	s_cbranch_execz .LBB0_20
; %bb.19:
	ds_read_u16 v5, v18 offset:52
	ds_read_u16 v11, v18 offset:80
	;; [unrolled: 1-line block ×4, first 2 shown]
	ds_read_u16 v0, v19
	ds_read_u16 v7, v18 offset:164
.LBB0_20:
	s_or_b64 exec, exec, s[6:7]
	v_mul_f16_sdwa v16, v16, v35 dst_sel:DWORD dst_unused:UNUSED_PAD src0_sel:DWORD src1_sel:WORD_1
	v_mul_f16_sdwa v13, v13, v38 dst_sel:DWORD dst_unused:UNUSED_PAD src0_sel:DWORD src1_sel:WORD_1
	;; [unrolled: 1-line block ×3, first 2 shown]
	v_fma_f16 v16, v32, v35, v16
	v_fma_f16 v13, v31, v38, v13
	v_mul_f16_sdwa v12, v12, v37 dst_sel:DWORD dst_unused:UNUSED_PAD src0_sel:DWORD src1_sel:WORD_1
	v_fma_f16 v17, v33, v36, v17
	v_fma_f16 v12, v30, v37, v12
	v_sub_f16_e32 v16, v27, v16
	v_sub_f16_e32 v30, v29, v13
	;; [unrolled: 1-line block ×3, first 2 shown]
	v_fma_f16 v27, v27, 2.0, -v16
	v_sub_f16_e32 v31, v28, v12
	v_fma_f16 v12, v26, 2.0, -v13
	v_fma_f16 v29, v29, 2.0, -v30
	;; [unrolled: 1-line block ×3, first 2 shown]
	s_waitcnt lgkmcnt(0)
	s_barrier
	ds_write_b16 v39, v27
	ds_write_b16 v39, v16 offset:14
	ds_write_b16 v41, v29
	ds_write_b16 v41, v30 offset:14
	;; [unrolled: 2-line block ×3, first 2 shown]
	s_and_saveexec_b64 s[6:7], s[2:3]
	s_cbranch_execz .LBB0_22
; %bb.21:
	v_mov_b32_e32 v16, 1
	v_lshlrev_b32_sdwa v16, v16, v34 dst_sel:DWORD dst_unused:UNUSED_PAD src0_sel:DWORD src1_sel:BYTE_0
	v_add3_u32 v15, 0, v16, v15
	ds_write_b16 v15, v12 offset:140
	ds_write_b16 v15, v13 offset:154
.LBB0_22:
	s_or_b64 exec, exec, s[6:7]
	s_waitcnt lgkmcnt(0)
	s_barrier
	ds_read_u16 v26, v14
	ds_read_u16 v27, v18 offset:28
	ds_read_u16 v30, v18 offset:56
	;; [unrolled: 1-line block ×5, first 2 shown]
                                        ; implicit-def: $vgpr14
                                        ; implicit-def: $vgpr15
                                        ; implicit-def: $vgpr16
                                        ; implicit-def: $vgpr17
	s_and_saveexec_b64 s[2:3], s[0:1]
	s_cbranch_execz .LBB0_24
; %bb.23:
	ds_read_u16 v13, v18 offset:52
	ds_read_u16 v17, v18 offset:80
	ds_read_u16 v16, v18 offset:108
	ds_read_u16 v15, v18 offset:136
	ds_read_u16 v12, v19
	ds_read_u16 v14, v18 offset:164
.LBB0_24:
	s_or_b64 exec, exec, s[2:3]
	s_and_saveexec_b64 s[2:3], vcc
	s_cbranch_execz .LBB0_27
; %bb.25:
	v_mul_u32_u24_e32 v18, 5, v6
	v_lshlrev_b32_e32 v18, 2, v18
	global_load_dwordx4 v[32:35], v18, s[8:9] offset:28
	global_load_dword v38, v18, s[8:9] offset:44
	v_lshrrev_b32_e32 v18, 1, v6
	s_mov_b32 s2, 0x92492493
	v_mul_hi_u32 v18, v18, s2
	v_mul_lo_u32 v36, s5, v3
	v_mul_lo_u32 v37, s4, v4
	v_mad_u64_u32 v[3:4], s[2:3], s4, v3, 0
	v_lshrrev_b32_e32 v18, 2, v18
	v_mul_lo_u32 v18, v18, 14
	v_add3_u32 v4, v4, v37, v36
	v_lshlrev_b64 v[3:4], 2, v[3:4]
	v_lshlrev_b64 v[1:2], 2, v[1:2]
	v_sub_u32_e32 v39, v6, v18
	v_mad_u64_u32 v[18:19], s[2:3], s20, v39, 0
	s_movk_i32 s3, 0x3aee
	s_mov_b32 s2, 0xbaee
	v_mad_u64_u32 v[36:37], s[4:5], s21, v39, v[19:20]
	s_waitcnt vmcnt(1) lgkmcnt(2)
	v_mul_f16_sdwa v43, v28, v34 dst_sel:DWORD dst_unused:UNUSED_PAD src0_sel:DWORD src1_sel:WORD_1
	s_waitcnt vmcnt(0) lgkmcnt(0)
	v_mul_f16_sdwa v44, v29, v38 dst_sel:DWORD dst_unused:UNUSED_PAD src0_sel:DWORD src1_sel:WORD_1
	v_mul_f16_sdwa v45, v22, v34 dst_sel:DWORD dst_unused:UNUSED_PAD src0_sel:DWORD src1_sel:WORD_1
	;; [unrolled: 1-line block ×9, first 2 shown]
	v_fma_f16 v22, v22, v34, -v43
	v_fma_f16 v23, v23, v38, -v44
	v_fma_f16 v28, v28, v34, v45
	v_fma_f16 v29, v29, v38, v46
	v_fma_f16 v19, v24, v33, -v19
	v_fma_f16 v24, v25, v35, -v37
	v_fma_f16 v25, v30, v33, v40
	v_fma_f16 v30, v31, v35, v41
	v_fma_f16 v21, v21, v32, -v42
	v_fma_f16 v27, v27, v32, v47
	v_add_f16_e32 v33, v22, v23
	v_add_f16_e32 v37, v28, v29
	v_sub_f16_e32 v31, v19, v24
	v_add_f16_e32 v32, v25, v30
	v_sub_f16_e32 v34, v28, v29
	v_sub_f16_e32 v35, v22, v23
	v_add_f16_e32 v38, v26, v25
	v_add_f16_e32 v28, v27, v28
	;; [unrolled: 1-line block ×5, first 2 shown]
	v_fma_f16 v21, v33, -0.5, v21
	v_fma_f16 v27, v37, -0.5, v27
	v_sub_f16_e32 v25, v25, v30
	v_fma_f16 v26, v32, -0.5, v26
	v_add_f16_e32 v30, v38, v30
	v_add_f16_e32 v28, v28, v29
	v_fma_f16 v20, v40, -0.5, v20
	v_add_f16_e32 v19, v19, v24
	v_add_f16_e32 v22, v22, v23
	v_fma_f16 v24, v34, s2, v21
	v_fma_f16 v29, v35, s3, v27
	;; [unrolled: 1-line block ×6, first 2 shown]
	v_sub_f16_e32 v31, v30, v28
	v_fma_f16 v32, v25, s2, v20
	v_fma_f16 v20, v25, s3, v20
	v_sub_f16_e32 v25, v19, v22
	v_add_f16_e32 v28, v30, v28
	v_add_f16_e32 v22, v19, v22
	v_mul_f16_e32 v19, -0.5, v29
	v_mul_f16_e32 v30, 0xbaee, v21
	v_mul_f16_e32 v33, -0.5, v24
	v_mul_f16_e32 v34, 0x3aee, v27
	v_fma_f16 v19, v24, s2, v19
	v_fma_f16 v24, v27, 0.5, v30
	v_fma_f16 v27, v29, s3, v33
	v_fma_f16 v21, v21, 0.5, v34
	v_sub_f16_e32 v30, v26, v24
	v_sub_f16_e32 v33, v32, v27
	;; [unrolled: 1-line block ×3, first 2 shown]
	v_add_f16_e32 v24, v26, v24
	v_add_f16_e32 v26, v32, v27
	;; [unrolled: 1-line block ×3, first 2 shown]
	v_mov_b32_e32 v20, s15
	v_add_co_u32_e32 v21, vcc, s14, v3
	v_add_u32_e32 v32, 14, v39
	v_addc_co_u32_e32 v20, vcc, v20, v4, vcc
	v_mad_u64_u32 v[3:4], s[4:5], s20, v32, 0
	v_sub_f16_e32 v29, v23, v19
	v_add_f16_e32 v23, v23, v19
	v_mov_b32_e32 v19, v36
	v_add_co_u32_e32 v1, vcc, v21, v1
	v_addc_co_u32_e32 v2, vcc, v20, v2, vcc
	v_lshlrev_b64 v[18:19], 2, v[18:19]
	v_mad_u64_u32 v[20:21], s[4:5], s21, v32, v[4:5]
	v_add_co_u32_e32 v18, vcc, v1, v18
	v_addc_co_u32_e32 v19, vcc, v2, v19, vcc
	v_pack_b32_f16 v4, v22, v28
	global_store_dword v[18:19], v4, off
	v_mov_b32_e32 v4, v20
	v_add_u32_e32 v20, 28, v39
	v_mad_u64_u32 v[18:19], s[4:5], s20, v20, 0
	v_pack_b32_f16 v22, v27, v24
	v_add_u32_e32 v24, 42, v39
	v_mad_u64_u32 v[19:20], s[4:5], s21, v20, v[19:20]
	v_lshlrev_b64 v[3:4], 2, v[3:4]
	v_mad_u64_u32 v[20:21], s[4:5], s20, v24, 0
	v_add_co_u32_e32 v3, vcc, v1, v3
	v_addc_co_u32_e32 v4, vcc, v2, v4, vcc
	global_store_dword v[3:4], v22, off
	v_lshlrev_b64 v[3:4], 2, v[18:19]
	v_mov_b32_e32 v18, v21
	v_mad_u64_u32 v[18:19], s[4:5], s21, v24, v[18:19]
	v_add_co_u32_e32 v3, vcc, v1, v3
	v_addc_co_u32_e32 v4, vcc, v2, v4, vcc
	v_pack_b32_f16 v19, v26, v23
	v_mov_b32_e32 v21, v18
	global_store_dword v[3:4], v19, off
	v_lshlrev_b64 v[3:4], 2, v[20:21]
	v_add_u32_e32 v20, 56, v39
	v_mad_u64_u32 v[18:19], s[4:5], s20, v20, 0
	v_add_u32_e32 v23, 0x46, v39
	v_add_co_u32_e32 v3, vcc, v1, v3
	v_mad_u64_u32 v[19:20], s[4:5], s21, v20, v[19:20]
	v_mad_u64_u32 v[20:21], s[4:5], s20, v23, 0
	v_addc_co_u32_e32 v4, vcc, v2, v4, vcc
	v_pack_b32_f16 v22, v25, v31
	global_store_dword v[3:4], v22, off
	v_lshlrev_b64 v[3:4], 2, v[18:19]
	v_mov_b32_e32 v18, v21
	v_mad_u64_u32 v[18:19], s[4:5], s21, v23, v[18:19]
	v_add_co_u32_e32 v3, vcc, v1, v3
	v_addc_co_u32_e32 v4, vcc, v2, v4, vcc
	v_pack_b32_f16 v19, v34, v30
	v_mov_b32_e32 v21, v18
	global_store_dword v[3:4], v19, off
	v_lshlrev_b64 v[3:4], 2, v[20:21]
	v_pack_b32_f16 v18, v33, v29
	v_add_co_u32_e32 v3, vcc, v1, v3
	v_addc_co_u32_e32 v4, vcc, v2, v4, vcc
	global_store_dword v[3:4], v18, off
	v_add_u32_e32 v3, 12, v6
	v_cmp_gt_u32_e32 vcc, 14, v3
	s_and_b64 exec, exec, vcc
	s_cbranch_execz .LBB0_27
; %bb.26:
	v_add_u32_e32 v4, -2, v6
	v_cndmask_b32_e64 v4, v4, v9, s[0:1]
	v_mul_i32_i24_e32 v18, 5, v4
	v_mov_b32_e32 v19, 0
	v_lshlrev_b64 v[18:19], 2, v[18:19]
	v_mov_b32_e32 v4, s9
	v_add_co_u32_e32 v22, vcc, s8, v18
	v_addc_co_u32_e32 v23, vcc, v4, v19, vcc
	global_load_dwordx4 v[18:21], v[22:23], off offset:28
	global_load_dword v9, v[22:23], off offset:44
	v_mad_u64_u32 v[22:23], s[0:1], s20, v3, 0
	v_add_u32_e32 v26, 26, v6
	v_mad_u64_u32 v[24:25], s[0:1], s20, v26, 0
	v_mov_b32_e32 v4, v23
	v_mad_u64_u32 v[3:4], s[0:1], s21, v3, v[4:5]
	v_mov_b32_e32 v4, v25
	;; [unrolled: 2-line block ×3, first 2 shown]
	v_lshlrev_b64 v[3:4], 2, v[22:23]
	v_add_co_u32_e32 v3, vcc, v1, v3
	v_addc_co_u32_e32 v4, vcc, v2, v4, vcc
	s_waitcnt vmcnt(1)
	v_mul_f16_sdwa v23, v5, v18 dst_sel:DWORD dst_unused:UNUSED_PAD src0_sel:DWORD src1_sel:WORD_1
	v_mul_f16_sdwa v29, v10, v20 dst_sel:DWORD dst_unused:UNUSED_PAD src0_sel:DWORD src1_sel:WORD_1
	s_waitcnt vmcnt(0)
	v_mul_f16_sdwa v32, v14, v9 dst_sel:DWORD dst_unused:UNUSED_PAD src0_sel:DWORD src1_sel:WORD_1
	v_mul_f16_sdwa v33, v7, v9 dst_sel:DWORD dst_unused:UNUSED_PAD src0_sel:DWORD src1_sel:WORD_1
	;; [unrolled: 1-line block ×7, first 2 shown]
	v_fma_f16 v13, v13, v18, v23
	v_fma_f16 v16, v16, v20, v29
	v_fma_f16 v7, v7, v9, -v32
	v_fma_f16 v9, v14, v9, v33
	v_mul_f16_sdwa v30, v15, v21 dst_sel:DWORD dst_unused:UNUSED_PAD src0_sel:DWORD src1_sel:WORD_1
	v_fma_f16 v5, v5, v18, -v22
	v_fma_f16 v11, v11, v19, -v26
	v_fma_f16 v17, v17, v19, v27
	v_fma_f16 v10, v10, v20, -v28
	v_fma_f16 v15, v15, v21, v31
	v_sub_f16_e32 v23, v16, v9
	v_add_f16_e32 v26, v13, v16
	v_add_f16_e32 v16, v16, v9
	v_fma_f16 v8, v8, v21, -v30
	v_sub_f16_e32 v19, v17, v15
	v_add_f16_e32 v20, v12, v17
	v_add_f16_e32 v17, v17, v15
	;; [unrolled: 1-line block ×4, first 2 shown]
	v_sub_f16_e32 v10, v10, v7
	v_fma_f16 v13, v16, -0.5, v13
	v_add_f16_e32 v14, v0, v11
	v_add_f16_e32 v18, v11, v8
	v_sub_f16_e32 v11, v11, v8
	v_fma_f16 v12, v17, -0.5, v12
	v_fma_f16 v5, v22, -0.5, v5
	v_fma_f16 v17, v10, s2, v13
	v_fma_f16 v10, v10, s3, v13
	v_add_f16_e32 v8, v14, v8
	v_fma_f16 v0, v18, -0.5, v0
	v_add_f16_e32 v14, v20, v15
	v_add_f16_e32 v7, v21, v7
	v_fma_f16 v16, v11, s2, v12
	v_fma_f16 v11, v11, s3, v12
	;; [unrolled: 1-line block ×4, first 2 shown]
	v_mul_f16_e32 v20, -0.5, v10
	v_fma_f16 v15, v19, s3, v0
	v_fma_f16 v0, v19, s2, v0
	v_add_f16_e32 v13, v8, v7
	v_sub_f16_e32 v19, v8, v7
	v_mul_f16_e32 v7, 0x3aee, v17
	v_mul_f16_e32 v8, -0.5, v5
	v_fma_f16 v5, v5, s2, v20
	v_add_f16_e32 v9, v26, v9
	v_fma_f16 v7, v12, 0.5, v7
	v_fma_f16 v8, v10, s3, v8
	v_add_f16_e32 v20, v11, v5
	v_sub_f16_e32 v11, v11, v5
	v_add_u32_e32 v5, 40, v6
	v_add_f16_e32 v18, v14, v9
	v_sub_f16_e32 v14, v14, v9
	v_mul_f16_e32 v9, 0xbaee, v12
	v_add_f16_e32 v10, v15, v7
	v_add_f16_e32 v12, v0, v8
	v_sub_f16_e32 v15, v15, v7
	v_sub_f16_e32 v21, v0, v8
	v_mad_u64_u32 v[7:8], s[0:1], s20, v5, 0
	v_pack_b32_f16 v0, v13, v18
	v_fma_f16 v9, v17, 0.5, v9
	global_store_dword v[3:4], v0, off
	v_mov_b32_e32 v0, v8
	v_add_f16_e32 v17, v16, v9
	v_sub_f16_e32 v16, v16, v9
	v_mad_u64_u32 v[8:9], s[0:1], s21, v5, v[0:1]
	v_add_u32_e32 v5, 54, v6
	v_pack_b32_f16 v13, v10, v17
	v_mad_u64_u32 v[9:10], s[0:1], s20, v5, 0
	v_lshlrev_b64 v[3:4], 2, v[24:25]
	v_add_co_u32_e32 v3, vcc, v1, v3
	v_addc_co_u32_e32 v4, vcc, v2, v4, vcc
	v_mov_b32_e32 v0, v10
	global_store_dword v[3:4], v13, off
	v_lshlrev_b64 v[3:4], 2, v[7:8]
	v_mad_u64_u32 v[7:8], s[0:1], s21, v5, v[0:1]
	v_add_u32_e32 v5, 0x44, v6
	v_add_co_u32_e32 v3, vcc, v1, v3
	v_mov_b32_e32 v10, v7
	v_mad_u64_u32 v[7:8], s[0:1], s20, v5, 0
	v_addc_co_u32_e32 v4, vcc, v2, v4, vcc
	v_pack_b32_f16 v0, v12, v20
	global_store_dword v[3:4], v0, off
	v_mov_b32_e32 v0, v8
	v_lshlrev_b64 v[3:4], 2, v[9:10]
	v_mad_u64_u32 v[8:9], s[0:1], s21, v5, v[0:1]
	v_add_u32_e32 v9, 0x52, v6
	v_mad_u64_u32 v[5:6], s[0:1], s20, v9, 0
	v_add_co_u32_e32 v3, vcc, v1, v3
	v_addc_co_u32_e32 v4, vcc, v2, v4, vcc
	v_pack_b32_f16 v10, v19, v14
	v_mov_b32_e32 v0, v6
	global_store_dword v[3:4], v10, off
	v_lshlrev_b64 v[3:4], 2, v[7:8]
	v_mad_u64_u32 v[6:7], s[0:1], s21, v9, v[0:1]
	v_add_co_u32_e32 v3, vcc, v1, v3
	v_addc_co_u32_e32 v4, vcc, v2, v4, vcc
	v_pack_b32_f16 v0, v15, v16
	global_store_dword v[3:4], v0, off
	v_lshlrev_b64 v[3:4], 2, v[5:6]
	v_add_co_u32_e32 v0, vcc, v1, v3
	v_addc_co_u32_e32 v1, vcc, v2, v4, vcc
	v_pack_b32_f16 v2, v21, v11
	global_store_dword v[0:1], v2, off
.LBB0_27:
	s_endpgm
	.section	.rodata,"a",@progbits
	.p2align	6, 0x0
	.amdhsa_kernel fft_rtc_fwd_len84_factors_7_2_6_wgs_120_tpt_12_halfLds_half_op_CI_CI_sbrr_dirReg
		.amdhsa_group_segment_fixed_size 0
		.amdhsa_private_segment_fixed_size 0
		.amdhsa_kernarg_size 104
		.amdhsa_user_sgpr_count 6
		.amdhsa_user_sgpr_private_segment_buffer 1
		.amdhsa_user_sgpr_dispatch_ptr 0
		.amdhsa_user_sgpr_queue_ptr 0
		.amdhsa_user_sgpr_kernarg_segment_ptr 1
		.amdhsa_user_sgpr_dispatch_id 0
		.amdhsa_user_sgpr_flat_scratch_init 0
		.amdhsa_user_sgpr_private_segment_size 0
		.amdhsa_uses_dynamic_stack 0
		.amdhsa_system_sgpr_private_segment_wavefront_offset 0
		.amdhsa_system_sgpr_workgroup_id_x 1
		.amdhsa_system_sgpr_workgroup_id_y 0
		.amdhsa_system_sgpr_workgroup_id_z 0
		.amdhsa_system_sgpr_workgroup_info 0
		.amdhsa_system_vgpr_workitem_id 0
		.amdhsa_next_free_vgpr 48
		.amdhsa_next_free_sgpr 32
		.amdhsa_reserve_vcc 1
		.amdhsa_reserve_flat_scratch 0
		.amdhsa_float_round_mode_32 0
		.amdhsa_float_round_mode_16_64 0
		.amdhsa_float_denorm_mode_32 3
		.amdhsa_float_denorm_mode_16_64 3
		.amdhsa_dx10_clamp 1
		.amdhsa_ieee_mode 1
		.amdhsa_fp16_overflow 0
		.amdhsa_exception_fp_ieee_invalid_op 0
		.amdhsa_exception_fp_denorm_src 0
		.amdhsa_exception_fp_ieee_div_zero 0
		.amdhsa_exception_fp_ieee_overflow 0
		.amdhsa_exception_fp_ieee_underflow 0
		.amdhsa_exception_fp_ieee_inexact 0
		.amdhsa_exception_int_div_zero 0
	.end_amdhsa_kernel
	.text
.Lfunc_end0:
	.size	fft_rtc_fwd_len84_factors_7_2_6_wgs_120_tpt_12_halfLds_half_op_CI_CI_sbrr_dirReg, .Lfunc_end0-fft_rtc_fwd_len84_factors_7_2_6_wgs_120_tpt_12_halfLds_half_op_CI_CI_sbrr_dirReg
                                        ; -- End function
	.section	.AMDGPU.csdata,"",@progbits
; Kernel info:
; codeLenInByte = 5564
; NumSgprs: 36
; NumVgprs: 48
; ScratchSize: 0
; MemoryBound: 0
; FloatMode: 240
; IeeeMode: 1
; LDSByteSize: 0 bytes/workgroup (compile time only)
; SGPRBlocks: 4
; VGPRBlocks: 11
; NumSGPRsForWavesPerEU: 36
; NumVGPRsForWavesPerEU: 48
; Occupancy: 5
; WaveLimiterHint : 1
; COMPUTE_PGM_RSRC2:SCRATCH_EN: 0
; COMPUTE_PGM_RSRC2:USER_SGPR: 6
; COMPUTE_PGM_RSRC2:TRAP_HANDLER: 0
; COMPUTE_PGM_RSRC2:TGID_X_EN: 1
; COMPUTE_PGM_RSRC2:TGID_Y_EN: 0
; COMPUTE_PGM_RSRC2:TGID_Z_EN: 0
; COMPUTE_PGM_RSRC2:TIDIG_COMP_CNT: 0
	.type	__hip_cuid_b6b0402301f63875,@object ; @__hip_cuid_b6b0402301f63875
	.section	.bss,"aw",@nobits
	.globl	__hip_cuid_b6b0402301f63875
__hip_cuid_b6b0402301f63875:
	.byte	0                               ; 0x0
	.size	__hip_cuid_b6b0402301f63875, 1

	.ident	"AMD clang version 19.0.0git (https://github.com/RadeonOpenCompute/llvm-project roc-6.4.0 25133 c7fe45cf4b819c5991fe208aaa96edf142730f1d)"
	.section	".note.GNU-stack","",@progbits
	.addrsig
	.addrsig_sym __hip_cuid_b6b0402301f63875
	.amdgpu_metadata
---
amdhsa.kernels:
  - .args:
      - .actual_access:  read_only
        .address_space:  global
        .offset:         0
        .size:           8
        .value_kind:     global_buffer
      - .offset:         8
        .size:           8
        .value_kind:     by_value
      - .actual_access:  read_only
        .address_space:  global
        .offset:         16
        .size:           8
        .value_kind:     global_buffer
      - .actual_access:  read_only
        .address_space:  global
        .offset:         24
        .size:           8
        .value_kind:     global_buffer
      - .actual_access:  read_only
        .address_space:  global
        .offset:         32
        .size:           8
        .value_kind:     global_buffer
      - .offset:         40
        .size:           8
        .value_kind:     by_value
      - .actual_access:  read_only
        .address_space:  global
        .offset:         48
        .size:           8
        .value_kind:     global_buffer
      - .actual_access:  read_only
        .address_space:  global
        .offset:         56
        .size:           8
        .value_kind:     global_buffer
      - .offset:         64
        .size:           4
        .value_kind:     by_value
      - .actual_access:  read_only
        .address_space:  global
        .offset:         72
        .size:           8
        .value_kind:     global_buffer
      - .actual_access:  read_only
        .address_space:  global
        .offset:         80
        .size:           8
        .value_kind:     global_buffer
      - .actual_access:  read_only
        .address_space:  global
        .offset:         88
        .size:           8
        .value_kind:     global_buffer
      - .actual_access:  write_only
        .address_space:  global
        .offset:         96
        .size:           8
        .value_kind:     global_buffer
    .group_segment_fixed_size: 0
    .kernarg_segment_align: 8
    .kernarg_segment_size: 104
    .language:       OpenCL C
    .language_version:
      - 2
      - 0
    .max_flat_workgroup_size: 120
    .name:           fft_rtc_fwd_len84_factors_7_2_6_wgs_120_tpt_12_halfLds_half_op_CI_CI_sbrr_dirReg
    .private_segment_fixed_size: 0
    .sgpr_count:     36
    .sgpr_spill_count: 0
    .symbol:         fft_rtc_fwd_len84_factors_7_2_6_wgs_120_tpt_12_halfLds_half_op_CI_CI_sbrr_dirReg.kd
    .uniform_work_group_size: 1
    .uses_dynamic_stack: false
    .vgpr_count:     48
    .vgpr_spill_count: 0
    .wavefront_size: 64
amdhsa.target:   amdgcn-amd-amdhsa--gfx906
amdhsa.version:
  - 1
  - 2
...

	.end_amdgpu_metadata
